;; amdgpu-corpus repo=ROCm/rocFFT kind=compiled arch=gfx1100 opt=O3
	.text
	.amdgcn_target "amdgcn-amd-amdhsa--gfx1100"
	.amdhsa_code_object_version 6
	.protected	fft_rtc_back_len560_factors_8_7_5_2_wgs_56_tpt_56_dp_ip_CI_unitstride_sbrr_R2C_dirReg ; -- Begin function fft_rtc_back_len560_factors_8_7_5_2_wgs_56_tpt_56_dp_ip_CI_unitstride_sbrr_R2C_dirReg
	.globl	fft_rtc_back_len560_factors_8_7_5_2_wgs_56_tpt_56_dp_ip_CI_unitstride_sbrr_R2C_dirReg
	.p2align	8
	.type	fft_rtc_back_len560_factors_8_7_5_2_wgs_56_tpt_56_dp_ip_CI_unitstride_sbrr_R2C_dirReg,@function
fft_rtc_back_len560_factors_8_7_5_2_wgs_56_tpt_56_dp_ip_CI_unitstride_sbrr_R2C_dirReg: ; @fft_rtc_back_len560_factors_8_7_5_2_wgs_56_tpt_56_dp_ip_CI_unitstride_sbrr_R2C_dirReg
; %bb.0:
	s_clause 0x2
	s_load_b128 s[4:7], s[0:1], 0x0
	s_load_b64 s[8:9], s[0:1], 0x50
	s_load_b64 s[10:11], s[0:1], 0x18
	v_mul_u32_u24_e32 v1, 0x493, v0
	v_mov_b32_e32 v3, 0
	v_mov_b32_e32 v4, 0
	s_delay_alu instid0(VALU_DEP_3) | instskip(SKIP_1) | instid1(VALU_DEP_1)
	v_lshrrev_b32_e32 v2, 16, v1
	v_mov_b32_e32 v1, 0
	v_dual_mov_b32 v6, v1 :: v_dual_add_nc_u32 v5, s15, v2
	s_waitcnt lgkmcnt(0)
	v_cmp_lt_u64_e64 s2, s[6:7], 2
	s_delay_alu instid0(VALU_DEP_1)
	s_and_b32 vcc_lo, exec_lo, s2
	s_cbranch_vccnz .LBB0_8
; %bb.1:
	s_load_b64 s[2:3], s[0:1], 0x10
	v_mov_b32_e32 v3, 0
	s_add_u32 s12, s10, 8
	v_mov_b32_e32 v4, 0
	s_addc_u32 s13, s11, 0
	s_mov_b64 s[16:17], 1
	s_waitcnt lgkmcnt(0)
	s_add_u32 s14, s2, 8
	s_addc_u32 s15, s3, 0
.LBB0_2:                                ; =>This Inner Loop Header: Depth=1
	s_load_b64 s[18:19], s[14:15], 0x0
                                        ; implicit-def: $vgpr7_vgpr8
	s_mov_b32 s2, exec_lo
	s_waitcnt lgkmcnt(0)
	v_or_b32_e32 v2, s19, v6
	s_delay_alu instid0(VALU_DEP_1)
	v_cmpx_ne_u64_e32 0, v[1:2]
	s_xor_b32 s3, exec_lo, s2
	s_cbranch_execz .LBB0_4
; %bb.3:                                ;   in Loop: Header=BB0_2 Depth=1
	v_cvt_f32_u32_e32 v2, s18
	v_cvt_f32_u32_e32 v7, s19
	s_sub_u32 s2, 0, s18
	s_subb_u32 s20, 0, s19
	s_delay_alu instid0(VALU_DEP_1) | instskip(NEXT) | instid1(VALU_DEP_1)
	v_fmac_f32_e32 v2, 0x4f800000, v7
	v_rcp_f32_e32 v2, v2
	s_waitcnt_depctr 0xfff
	v_mul_f32_e32 v2, 0x5f7ffffc, v2
	s_delay_alu instid0(VALU_DEP_1) | instskip(NEXT) | instid1(VALU_DEP_1)
	v_mul_f32_e32 v7, 0x2f800000, v2
	v_trunc_f32_e32 v7, v7
	s_delay_alu instid0(VALU_DEP_1) | instskip(SKIP_1) | instid1(VALU_DEP_2)
	v_fmac_f32_e32 v2, 0xcf800000, v7
	v_cvt_u32_f32_e32 v7, v7
	v_cvt_u32_f32_e32 v2, v2
	s_delay_alu instid0(VALU_DEP_2) | instskip(NEXT) | instid1(VALU_DEP_2)
	v_mul_lo_u32 v8, s2, v7
	v_mul_hi_u32 v9, s2, v2
	v_mul_lo_u32 v10, s20, v2
	s_delay_alu instid0(VALU_DEP_2) | instskip(SKIP_1) | instid1(VALU_DEP_2)
	v_add_nc_u32_e32 v8, v9, v8
	v_mul_lo_u32 v9, s2, v2
	v_add_nc_u32_e32 v8, v8, v10
	s_delay_alu instid0(VALU_DEP_2) | instskip(NEXT) | instid1(VALU_DEP_2)
	v_mul_hi_u32 v10, v2, v9
	v_mul_lo_u32 v11, v2, v8
	v_mul_hi_u32 v12, v2, v8
	v_mul_hi_u32 v13, v7, v9
	v_mul_lo_u32 v9, v7, v9
	v_mul_hi_u32 v14, v7, v8
	v_mul_lo_u32 v8, v7, v8
	v_add_co_u32 v10, vcc_lo, v10, v11
	v_add_co_ci_u32_e32 v11, vcc_lo, 0, v12, vcc_lo
	s_delay_alu instid0(VALU_DEP_2) | instskip(NEXT) | instid1(VALU_DEP_2)
	v_add_co_u32 v9, vcc_lo, v10, v9
	v_add_co_ci_u32_e32 v9, vcc_lo, v11, v13, vcc_lo
	v_add_co_ci_u32_e32 v10, vcc_lo, 0, v14, vcc_lo
	s_delay_alu instid0(VALU_DEP_2) | instskip(NEXT) | instid1(VALU_DEP_2)
	v_add_co_u32 v8, vcc_lo, v9, v8
	v_add_co_ci_u32_e32 v9, vcc_lo, 0, v10, vcc_lo
	s_delay_alu instid0(VALU_DEP_2) | instskip(NEXT) | instid1(VALU_DEP_2)
	v_add_co_u32 v2, vcc_lo, v2, v8
	v_add_co_ci_u32_e32 v7, vcc_lo, v7, v9, vcc_lo
	s_delay_alu instid0(VALU_DEP_2) | instskip(SKIP_1) | instid1(VALU_DEP_3)
	v_mul_hi_u32 v8, s2, v2
	v_mul_lo_u32 v10, s20, v2
	v_mul_lo_u32 v9, s2, v7
	s_delay_alu instid0(VALU_DEP_1) | instskip(SKIP_1) | instid1(VALU_DEP_2)
	v_add_nc_u32_e32 v8, v8, v9
	v_mul_lo_u32 v9, s2, v2
	v_add_nc_u32_e32 v8, v8, v10
	s_delay_alu instid0(VALU_DEP_2) | instskip(NEXT) | instid1(VALU_DEP_2)
	v_mul_hi_u32 v10, v2, v9
	v_mul_lo_u32 v11, v2, v8
	v_mul_hi_u32 v12, v2, v8
	v_mul_hi_u32 v13, v7, v9
	v_mul_lo_u32 v9, v7, v9
	v_mul_hi_u32 v14, v7, v8
	v_mul_lo_u32 v8, v7, v8
	v_add_co_u32 v10, vcc_lo, v10, v11
	v_add_co_ci_u32_e32 v11, vcc_lo, 0, v12, vcc_lo
	s_delay_alu instid0(VALU_DEP_2) | instskip(NEXT) | instid1(VALU_DEP_2)
	v_add_co_u32 v9, vcc_lo, v10, v9
	v_add_co_ci_u32_e32 v9, vcc_lo, v11, v13, vcc_lo
	v_add_co_ci_u32_e32 v10, vcc_lo, 0, v14, vcc_lo
	s_delay_alu instid0(VALU_DEP_2) | instskip(NEXT) | instid1(VALU_DEP_2)
	v_add_co_u32 v8, vcc_lo, v9, v8
	v_add_co_ci_u32_e32 v9, vcc_lo, 0, v10, vcc_lo
	s_delay_alu instid0(VALU_DEP_2) | instskip(NEXT) | instid1(VALU_DEP_2)
	v_add_co_u32 v2, vcc_lo, v2, v8
	v_add_co_ci_u32_e32 v13, vcc_lo, v7, v9, vcc_lo
	s_delay_alu instid0(VALU_DEP_2) | instskip(SKIP_1) | instid1(VALU_DEP_3)
	v_mul_hi_u32 v14, v5, v2
	v_mad_u64_u32 v[9:10], null, v6, v2, 0
	v_mad_u64_u32 v[7:8], null, v5, v13, 0
	;; [unrolled: 1-line block ×3, first 2 shown]
	s_delay_alu instid0(VALU_DEP_2) | instskip(NEXT) | instid1(VALU_DEP_3)
	v_add_co_u32 v2, vcc_lo, v14, v7
	v_add_co_ci_u32_e32 v7, vcc_lo, 0, v8, vcc_lo
	s_delay_alu instid0(VALU_DEP_2) | instskip(NEXT) | instid1(VALU_DEP_2)
	v_add_co_u32 v2, vcc_lo, v2, v9
	v_add_co_ci_u32_e32 v2, vcc_lo, v7, v10, vcc_lo
	v_add_co_ci_u32_e32 v7, vcc_lo, 0, v12, vcc_lo
	s_delay_alu instid0(VALU_DEP_2) | instskip(NEXT) | instid1(VALU_DEP_2)
	v_add_co_u32 v2, vcc_lo, v2, v11
	v_add_co_ci_u32_e32 v9, vcc_lo, 0, v7, vcc_lo
	s_delay_alu instid0(VALU_DEP_2) | instskip(SKIP_1) | instid1(VALU_DEP_3)
	v_mul_lo_u32 v10, s19, v2
	v_mad_u64_u32 v[7:8], null, s18, v2, 0
	v_mul_lo_u32 v11, s18, v9
	s_delay_alu instid0(VALU_DEP_2) | instskip(NEXT) | instid1(VALU_DEP_2)
	v_sub_co_u32 v7, vcc_lo, v5, v7
	v_add3_u32 v8, v8, v11, v10
	s_delay_alu instid0(VALU_DEP_1) | instskip(NEXT) | instid1(VALU_DEP_1)
	v_sub_nc_u32_e32 v10, v6, v8
	v_subrev_co_ci_u32_e64 v10, s2, s19, v10, vcc_lo
	v_add_co_u32 v11, s2, v2, 2
	s_delay_alu instid0(VALU_DEP_1) | instskip(SKIP_3) | instid1(VALU_DEP_3)
	v_add_co_ci_u32_e64 v12, s2, 0, v9, s2
	v_sub_co_u32 v13, s2, v7, s18
	v_sub_co_ci_u32_e32 v8, vcc_lo, v6, v8, vcc_lo
	v_subrev_co_ci_u32_e64 v10, s2, 0, v10, s2
	v_cmp_le_u32_e32 vcc_lo, s18, v13
	s_delay_alu instid0(VALU_DEP_3) | instskip(SKIP_1) | instid1(VALU_DEP_4)
	v_cmp_eq_u32_e64 s2, s19, v8
	v_cndmask_b32_e64 v13, 0, -1, vcc_lo
	v_cmp_le_u32_e32 vcc_lo, s19, v10
	v_cndmask_b32_e64 v14, 0, -1, vcc_lo
	v_cmp_le_u32_e32 vcc_lo, s18, v7
	;; [unrolled: 2-line block ×3, first 2 shown]
	v_cndmask_b32_e64 v15, 0, -1, vcc_lo
	v_cmp_eq_u32_e32 vcc_lo, s19, v10
	s_delay_alu instid0(VALU_DEP_2) | instskip(SKIP_3) | instid1(VALU_DEP_3)
	v_cndmask_b32_e64 v7, v15, v7, s2
	v_cndmask_b32_e32 v10, v14, v13, vcc_lo
	v_add_co_u32 v13, vcc_lo, v2, 1
	v_add_co_ci_u32_e32 v14, vcc_lo, 0, v9, vcc_lo
	v_cmp_ne_u32_e32 vcc_lo, 0, v10
	s_delay_alu instid0(VALU_DEP_2) | instskip(NEXT) | instid1(VALU_DEP_4)
	v_cndmask_b32_e32 v8, v14, v12, vcc_lo
	v_cndmask_b32_e32 v10, v13, v11, vcc_lo
	v_cmp_ne_u32_e32 vcc_lo, 0, v7
	s_delay_alu instid0(VALU_DEP_2)
	v_dual_cndmask_b32 v7, v2, v10 :: v_dual_cndmask_b32 v8, v9, v8
.LBB0_4:                                ;   in Loop: Header=BB0_2 Depth=1
	s_and_not1_saveexec_b32 s2, s3
	s_cbranch_execz .LBB0_6
; %bb.5:                                ;   in Loop: Header=BB0_2 Depth=1
	v_cvt_f32_u32_e32 v2, s18
	s_sub_i32 s3, 0, s18
	s_delay_alu instid0(VALU_DEP_1) | instskip(SKIP_2) | instid1(VALU_DEP_1)
	v_rcp_iflag_f32_e32 v2, v2
	s_waitcnt_depctr 0xfff
	v_mul_f32_e32 v2, 0x4f7ffffe, v2
	v_cvt_u32_f32_e32 v2, v2
	s_delay_alu instid0(VALU_DEP_1) | instskip(NEXT) | instid1(VALU_DEP_1)
	v_mul_lo_u32 v7, s3, v2
	v_mul_hi_u32 v7, v2, v7
	s_delay_alu instid0(VALU_DEP_1) | instskip(NEXT) | instid1(VALU_DEP_1)
	v_add_nc_u32_e32 v2, v2, v7
	v_mul_hi_u32 v2, v5, v2
	s_delay_alu instid0(VALU_DEP_1) | instskip(SKIP_1) | instid1(VALU_DEP_2)
	v_mul_lo_u32 v7, v2, s18
	v_add_nc_u32_e32 v8, 1, v2
	v_sub_nc_u32_e32 v7, v5, v7
	s_delay_alu instid0(VALU_DEP_1) | instskip(SKIP_1) | instid1(VALU_DEP_2)
	v_subrev_nc_u32_e32 v9, s18, v7
	v_cmp_le_u32_e32 vcc_lo, s18, v7
	v_dual_cndmask_b32 v7, v7, v9 :: v_dual_cndmask_b32 v2, v2, v8
	s_delay_alu instid0(VALU_DEP_1) | instskip(NEXT) | instid1(VALU_DEP_2)
	v_cmp_le_u32_e32 vcc_lo, s18, v7
	v_add_nc_u32_e32 v8, 1, v2
	s_delay_alu instid0(VALU_DEP_1)
	v_dual_cndmask_b32 v7, v2, v8 :: v_dual_mov_b32 v8, v1
.LBB0_6:                                ;   in Loop: Header=BB0_2 Depth=1
	s_or_b32 exec_lo, exec_lo, s2
	s_load_b64 s[2:3], s[12:13], 0x0
	s_delay_alu instid0(VALU_DEP_1) | instskip(NEXT) | instid1(VALU_DEP_2)
	v_mul_lo_u32 v2, v8, s18
	v_mul_lo_u32 v11, v7, s19
	v_mad_u64_u32 v[9:10], null, v7, s18, 0
	s_add_u32 s16, s16, 1
	s_addc_u32 s17, s17, 0
	s_add_u32 s12, s12, 8
	s_addc_u32 s13, s13, 0
	;; [unrolled: 2-line block ×3, first 2 shown]
	s_delay_alu instid0(VALU_DEP_1) | instskip(SKIP_1) | instid1(VALU_DEP_2)
	v_add3_u32 v2, v10, v11, v2
	v_sub_co_u32 v9, vcc_lo, v5, v9
	v_sub_co_ci_u32_e32 v2, vcc_lo, v6, v2, vcc_lo
	s_waitcnt lgkmcnt(0)
	s_delay_alu instid0(VALU_DEP_2) | instskip(NEXT) | instid1(VALU_DEP_2)
	v_mul_lo_u32 v10, s3, v9
	v_mul_lo_u32 v2, s2, v2
	v_mad_u64_u32 v[5:6], null, s2, v9, v[3:4]
	v_cmp_ge_u64_e64 s2, s[16:17], s[6:7]
	s_delay_alu instid0(VALU_DEP_1) | instskip(NEXT) | instid1(VALU_DEP_2)
	s_and_b32 vcc_lo, exec_lo, s2
	v_add3_u32 v4, v10, v6, v2
	s_delay_alu instid0(VALU_DEP_3)
	v_mov_b32_e32 v3, v5
	s_cbranch_vccnz .LBB0_9
; %bb.7:                                ;   in Loop: Header=BB0_2 Depth=1
	v_dual_mov_b32 v5, v7 :: v_dual_mov_b32 v6, v8
	s_branch .LBB0_2
.LBB0_8:
	v_dual_mov_b32 v8, v6 :: v_dual_mov_b32 v7, v5
.LBB0_9:
	s_lshl_b64 s[2:3], s[6:7], 3
	v_mul_hi_u32 v1, 0x4924925, v0
	s_add_u32 s2, s10, s2
	s_addc_u32 s3, s11, s3
	s_load_b64 s[2:3], s[2:3], 0x0
	s_load_b64 s[0:1], s[0:1], 0x20
	s_delay_alu instid0(VALU_DEP_1) | instskip(NEXT) | instid1(VALU_DEP_1)
	v_mul_u32_u24_e32 v5, 56, v1
	v_sub_nc_u32_e32 v80, v0, v5
	s_delay_alu instid0(VALU_DEP_1)
	v_add_nc_u32_e32 v86, 56, v80
	s_waitcnt lgkmcnt(0)
	v_mul_lo_u32 v6, s2, v8
	v_mul_lo_u32 v9, s3, v7
	v_mad_u64_u32 v[1:2], null, s2, v7, v[3:4]
	v_cmp_gt_u64_e32 vcc_lo, s[0:1], v[7:8]
	v_cmp_le_u64_e64 s0, s[0:1], v[7:8]
	s_delay_alu instid0(VALU_DEP_3) | instskip(NEXT) | instid1(VALU_DEP_2)
	v_add3_u32 v2, v9, v2, v6
	s_and_saveexec_b32 s1, s0
	s_delay_alu instid0(SALU_CYCLE_1)
	s_xor_b32 s0, exec_lo, s1
; %bb.10:
	v_add_nc_u32_e32 v86, 56, v80
; %bb.11:
	s_or_saveexec_b32 s1, s0
	v_lshlrev_b64 v[84:85], 4, v[1:2]
	v_lshl_add_u32 v88, v80, 4, 0
	v_or_b32_e32 v82, 0x1c0, v80
	s_xor_b32 exec_lo, exec_lo, s1
	s_cbranch_execz .LBB0_13
; %bb.12:
	v_mov_b32_e32 v81, 0
	v_add_co_u32 v20, s0, s8, v84
	s_delay_alu instid0(VALU_DEP_1) | instskip(NEXT) | instid1(VALU_DEP_3)
	v_add_co_ci_u32_e64 v21, s0, s9, v85, s0
	v_lshlrev_b64 v[0:1], 4, v[80:81]
	v_mov_b32_e32 v83, v81
	s_delay_alu instid0(VALU_DEP_1) | instskip(NEXT) | instid1(VALU_DEP_3)
	v_lshlrev_b64 v[18:19], 4, v[82:83]
	v_add_co_u32 v16, s0, v20, v0
	s_delay_alu instid0(VALU_DEP_1)
	v_add_co_ci_u32_e64 v17, s0, v21, v1, s0
	s_clause 0x3
	global_load_b128 v[0:3], v[16:17], off
	global_load_b128 v[4:7], v[16:17], off offset:896
	global_load_b128 v[8:11], v[16:17], off offset:1792
	;; [unrolled: 1-line block ×3, first 2 shown]
	v_add_co_u32 v36, s0, 0x1000, v16
	s_delay_alu instid0(VALU_DEP_1) | instskip(SKIP_1) | instid1(VALU_DEP_1)
	v_add_co_ci_u32_e64 v37, s0, 0, v17, s0
	v_add_co_u32 v32, s0, v20, v18
	v_add_co_ci_u32_e64 v33, s0, v21, v19, s0
	s_clause 0x5
	global_load_b128 v[16:19], v[16:17], off offset:3584
	global_load_b128 v[20:23], v[36:37], off offset:384
	;; [unrolled: 1-line block ×4, first 2 shown]
	global_load_b128 v[32:35], v[32:33], off
	global_load_b128 v[36:39], v[36:37], off offset:3968
	s_waitcnt vmcnt(9)
	ds_store_b128 v88, v[0:3]
	s_waitcnt vmcnt(8)
	ds_store_b128 v88, v[4:7] offset:896
	s_waitcnt vmcnt(7)
	ds_store_b128 v88, v[8:11] offset:1792
	;; [unrolled: 2-line block ×9, first 2 shown]
.LBB0_13:
	s_or_b32 exec_lo, exec_lo, s1
	s_waitcnt lgkmcnt(0)
	s_barrier
	buffer_gl0_inv
	ds_load_b128 v[0:3], v88 offset:4480
	ds_load_b128 v[4:7], v88
	ds_load_b128 v[8:11], v88 offset:2240
	ds_load_b128 v[12:15], v88 offset:6720
	;; [unrolled: 1-line block ×14, first 2 shown]
	s_mov_b32 s0, 0x667f3bcd
	s_mov_b32 s1, 0xbfe6a09e
	;; [unrolled: 1-line block ×4, first 2 shown]
	s_waitcnt lgkmcnt(0)
	v_add_f64 v[0:1], v[4:5], -v[0:1]
	v_add_f64 v[2:3], v[6:7], -v[2:3]
	;; [unrolled: 1-line block ×16, first 2 shown]
	s_barrier
	buffer_gl0_inv
	v_fma_f64 v[4:5], v[4:5], 2.0, -v[0:1]
	v_fma_f64 v[6:7], v[6:7], 2.0, -v[2:3]
	;; [unrolled: 1-line block ×8, first 2 shown]
	v_add_f64 v[14:15], v[0:1], v[14:15]
	v_add_f64 v[12:13], v[2:3], -v[12:13]
	v_add_f64 v[30:31], v[20:21], v[30:31]
	v_add_f64 v[28:29], v[22:23], -v[28:29]
	v_fma_f64 v[32:33], v[32:33], 2.0, -v[36:37]
	v_fma_f64 v[34:35], v[34:35], 2.0, -v[38:39]
	;; [unrolled: 1-line block ×6, first 2 shown]
	v_add_f64 v[64:65], v[36:37], v[46:47]
	v_add_f64 v[66:67], v[38:39], -v[44:45]
	v_fma_f64 v[44:45], v[56:57], 2.0, -v[60:61]
	v_fma_f64 v[46:47], v[58:59], 2.0, -v[62:63]
	v_add_f64 v[56:57], v[52:53], v[62:63]
	v_add_f64 v[58:59], v[54:55], -v[60:61]
	v_add_f64 v[8:9], v[4:5], -v[8:9]
	;; [unrolled: 1-line block ×3, first 2 shown]
	v_fma_f64 v[60:61], v[0:1], 2.0, -v[14:15]
	v_fma_f64 v[62:63], v[2:3], 2.0, -v[12:13]
	v_add_f64 v[0:1], v[16:17], -v[24:25]
	v_add_f64 v[2:3], v[18:19], -v[26:27]
	v_fma_f64 v[20:21], v[20:21], 2.0, -v[30:31]
	v_fma_f64 v[22:23], v[22:23], 2.0, -v[28:29]
	v_add_f64 v[68:69], v[32:33], -v[40:41]
	v_add_f64 v[70:71], v[34:35], -v[42:43]
	v_fma_f64 v[40:41], v[30:31], s[2:3], v[14:15]
	v_fma_f64 v[42:43], v[28:29], s[2:3], v[12:13]
	v_fma_f64 v[72:73], v[36:37], 2.0, -v[64:65]
	v_fma_f64 v[74:75], v[38:39], 2.0, -v[66:67]
	v_add_f64 v[24:25], v[48:49], -v[44:45]
	v_add_f64 v[26:27], v[50:51], -v[46:47]
	v_fma_f64 v[52:53], v[52:53], 2.0, -v[56:57]
	v_fma_f64 v[54:55], v[54:55], 2.0, -v[58:59]
	v_fma_f64 v[44:45], v[56:57], s[2:3], v[64:65]
	v_fma_f64 v[46:47], v[58:59], s[2:3], v[66:67]
	v_fma_f64 v[4:5], v[4:5], 2.0, -v[8:9]
	v_fma_f64 v[6:7], v[6:7], 2.0, -v[10:11]
	;; [unrolled: 1-line block ×4, first 2 shown]
	v_fma_f64 v[76:77], v[20:21], s[0:1], v[60:61]
	v_fma_f64 v[78:79], v[22:23], s[0:1], v[62:63]
	v_fma_f64 v[89:90], v[32:33], 2.0, -v[68:69]
	v_fma_f64 v[91:92], v[34:35], 2.0, -v[70:71]
	v_add_f64 v[36:37], v[8:9], v[2:3]
	v_add_f64 v[38:39], v[10:11], -v[0:1]
	v_fma_f64 v[0:1], v[28:29], s[2:3], v[40:41]
	v_fma_f64 v[2:3], v[30:31], s[0:1], v[42:43]
	v_fma_f64 v[48:49], v[48:49], 2.0, -v[24:25]
	v_fma_f64 v[50:51], v[50:51], 2.0, -v[26:27]
	v_fma_f64 v[93:94], v[52:53], s[0:1], v[72:73]
	v_fma_f64 v[95:96], v[54:55], s[0:1], v[74:75]
	v_add_f64 v[32:33], v[68:69], v[26:27]
	v_add_f64 v[34:35], v[70:71], -v[24:25]
	v_fma_f64 v[28:29], v[58:59], s[2:3], v[44:45]
	v_fma_f64 v[30:31], v[56:57], s[0:1], v[46:47]
	v_add_f64 v[40:41], v[4:5], -v[16:17]
	v_add_f64 v[42:43], v[6:7], -v[18:19]
	v_fma_f64 v[44:45], v[22:23], s[2:3], v[76:77]
	v_fma_f64 v[46:47], v[20:21], s[0:1], v[78:79]
	v_add_f64 v[20:21], v[89:90], -v[48:49]
	v_add_f64 v[22:23], v[91:92], -v[50:51]
	v_fma_f64 v[24:25], v[54:55], s[2:3], v[93:94]
	v_fma_f64 v[26:27], v[52:53], s[0:1], v[95:96]
	v_fma_f64 v[48:49], v[8:9], 2.0, -v[36:37]
	v_fma_f64 v[50:51], v[10:11], 2.0, -v[38:39]
	;; [unrolled: 1-line block ×8, first 2 shown]
	v_mad_u32_u24 v64, 0x70, v80, v88
	s_mov_b32 s1, exec_lo
	v_fma_f64 v[56:57], v[4:5], 2.0, -v[40:41]
	v_fma_f64 v[58:59], v[6:7], 2.0, -v[42:43]
	;; [unrolled: 1-line block ×4, first 2 shown]
	ds_store_b128 v64, v[48:51] offset:32
	ds_store_b128 v64, v[52:55] offset:48
	;; [unrolled: 1-line block ×4, first 2 shown]
	ds_store_b128 v64, v[56:59]
	ds_store_b128 v64, v[60:63] offset:16
	ds_store_b128 v64, v[36:39] offset:96
	;; [unrolled: 1-line block ×3, first 2 shown]
	v_fma_f64 v[4:5], v[89:90], 2.0, -v[20:21]
	v_fma_f64 v[6:7], v[91:92], 2.0, -v[22:23]
	;; [unrolled: 1-line block ×4, first 2 shown]
	v_cmpx_gt_u32_e32 14, v80
	s_cbranch_execz .LBB0_15
; %bb.14:
	v_lshl_add_u32 v36, v86, 7, 0
	ds_store_b128 v36, v[4:7]
	ds_store_b128 v36, v[12:15] offset:16
	ds_store_b128 v36, v[8:11] offset:32
	;; [unrolled: 1-line block ×7, first 2 shown]
.LBB0_15:
	s_or_b32 exec_lo, exec_lo, s1
	s_waitcnt lgkmcnt(0)
	s_barrier
	buffer_gl0_inv
	ds_load_b128 v[36:39], v88
	ds_load_b128 v[72:75], v88 offset:1280
	ds_load_b128 v[68:71], v88 offset:2560
	;; [unrolled: 1-line block ×6, first 2 shown]
	v_cmp_gt_u32_e64 s0, 24, v80
	v_lshl_add_u32 v83, v86, 4, 0
	s_delay_alu instid0(VALU_DEP_2)
	s_and_saveexec_b32 s1, s0
	s_cbranch_execz .LBB0_17
; %bb.16:
	ds_load_b128 v[0:3], v83
	ds_load_b128 v[4:7], v88 offset:2176
	ds_load_b128 v[12:15], v88 offset:3456
	;; [unrolled: 1-line block ×6, first 2 shown]
.LBB0_17:
	s_or_b32 exec_lo, exec_lo, s1
	v_and_b32_e32 v81, 7, v80
	s_mov_b32 s6, 0x37e14327
	s_mov_b32 s10, 0xe976ee23
	;; [unrolled: 1-line block ×4, first 2 shown]
	v_mul_u32_u24_e32 v28, 6, v81
	s_mov_b32 s2, 0x429ad128
	s_mov_b32 s3, 0xbfebfeb5
	;; [unrolled: 1-line block ×4, first 2 shown]
	v_lshlrev_b32_e32 v44, 4, v28
	s_mov_b32 s12, 0xaaaaaaaa
	s_mov_b32 s20, 0xb247c609
	;; [unrolled: 1-line block ×4, first 2 shown]
	s_clause 0x5
	global_load_b128 v[28:31], v44, s[4:5]
	global_load_b128 v[32:35], v44, s[4:5] offset:16
	global_load_b128 v[40:43], v44, s[4:5] offset:80
	;; [unrolled: 1-line block ×5, first 2 shown]
	s_mov_b32 s21, 0xbfd5d0dc
	s_mov_b32 s15, 0x3fe77f67
	;; [unrolled: 1-line block ×8, first 2 shown]
	v_lshrrev_b32_e32 v87, 3, v80
	s_waitcnt vmcnt(0) lgkmcnt(0)
	s_barrier
	buffer_gl0_inv
	v_mul_u32_u24_e32 v87, 56, v87
	s_delay_alu instid0(VALU_DEP_1) | instskip(NEXT) | instid1(VALU_DEP_1)
	v_or_b32_e32 v87, v87, v81
	v_lshl_add_u32 v87, v87, 4, 0
	v_mul_f64 v[89:90], v[74:75], v[30:31]
	v_mul_f64 v[91:92], v[72:73], v[30:31]
	;; [unrolled: 1-line block ×12, first 2 shown]
	v_fma_f64 v[72:73], v[72:73], v[28:29], v[89:90]
	v_fma_f64 v[74:75], v[74:75], v[28:29], -v[91:92]
	v_fma_f64 v[68:69], v[68:69], v[32:33], v[93:94]
	v_fma_f64 v[70:71], v[70:71], v[32:33], -v[95:96]
	;; [unrolled: 2-line block ×6, first 2 shown]
	v_add_f64 v[89:90], v[72:73], v[76:77]
	v_add_f64 v[91:92], v[74:75], v[78:79]
	;; [unrolled: 1-line block ×4, first 2 shown]
	v_add_f64 v[64:65], v[68:69], -v[64:65]
	v_add_f64 v[66:67], v[70:71], -v[66:67]
	v_add_f64 v[68:69], v[60:61], v[56:57]
	v_add_f64 v[70:71], v[62:63], v[58:59]
	v_add_f64 v[56:57], v[56:57], -v[60:61]
	v_add_f64 v[58:59], v[58:59], -v[62:63]
	;; [unrolled: 1-line block ×4, first 2 shown]
	v_add_f64 v[72:73], v[93:94], v[89:90]
	v_add_f64 v[74:75], v[95:96], v[91:92]
	v_add_f64 v[76:77], v[89:90], -v[68:69]
	v_add_f64 v[78:79], v[91:92], -v[70:71]
	;; [unrolled: 1-line block ×6, first 2 shown]
	v_add_f64 v[64:65], v[56:57], v[64:65]
	v_add_f64 v[66:67], v[58:59], v[66:67]
	v_add_f64 v[56:57], v[60:61], -v[56:57]
	v_add_f64 v[58:59], v[62:63], -v[58:59]
	;; [unrolled: 1-line block ×4, first 2 shown]
	v_add_f64 v[72:73], v[68:69], v[72:73]
	v_add_f64 v[74:75], v[70:71], v[74:75]
	v_add_f64 v[68:69], v[68:69], -v[93:94]
	v_add_f64 v[70:71], v[70:71], -v[95:96]
	v_mul_f64 v[76:77], v[76:77], s[6:7]
	v_mul_f64 v[78:79], v[78:79], s[6:7]
	;; [unrolled: 1-line block ×6, first 2 shown]
	v_add_f64 v[60:61], v[64:65], v[60:61]
	v_add_f64 v[62:63], v[66:67], v[62:63]
	;; [unrolled: 1-line block ×4, first 2 shown]
	v_mul_f64 v[93:94], v[68:69], s[16:17]
	v_mul_f64 v[95:96], v[70:71], s[16:17]
	v_fma_f64 v[64:65], v[68:69], s[16:17], v[76:77]
	v_fma_f64 v[66:67], v[70:71], s[16:17], v[78:79]
	v_fma_f64 v[68:69], v[56:57], s[20:21], v[97:98]
	v_fma_f64 v[70:71], v[58:59], s[20:21], v[99:100]
	v_fma_f64 v[97:98], v[101:102], s[2:3], -v[97:98]
	v_fma_f64 v[99:100], v[103:104], s[2:3], -v[99:100]
	;; [unrolled: 1-line block ×6, first 2 shown]
	v_fma_f64 v[72:73], v[72:73], s[12:13], v[36:37]
	v_fma_f64 v[74:75], v[74:75], s[12:13], v[38:39]
	v_fma_f64 v[89:90], v[89:90], s[14:15], -v[93:94]
	v_fma_f64 v[91:92], v[91:92], s[14:15], -v[95:96]
	v_fma_f64 v[93:94], v[60:61], s[24:25], v[68:69]
	v_fma_f64 v[95:96], v[62:63], s[24:25], v[70:71]
	;; [unrolled: 1-line block ×6, first 2 shown]
	v_add_f64 v[101:102], v[64:65], v[72:73]
	v_add_f64 v[103:104], v[66:67], v[74:75]
	;; [unrolled: 1-line block ×7, first 2 shown]
	v_add_f64 v[58:59], v[103:104], -v[93:94]
	v_add_f64 v[60:61], v[99:100], v[76:77]
	v_add_f64 v[62:63], v[78:79], -v[97:98]
	v_add_f64 v[64:65], v[72:73], -v[68:69]
	v_add_f64 v[66:67], v[70:71], v[74:75]
	v_add_f64 v[68:69], v[68:69], v[72:73]
	v_add_f64 v[70:71], v[74:75], -v[70:71]
	v_add_f64 v[72:73], v[76:77], -v[99:100]
	v_add_f64 v[74:75], v[97:98], v[78:79]
	v_add_f64 v[76:77], v[101:102], -v[95:96]
	v_add_f64 v[78:79], v[93:94], v[103:104]
	ds_store_b128 v87, v[36:39]
	ds_store_b128 v87, v[56:59] offset:128
	ds_store_b128 v87, v[60:63] offset:256
	;; [unrolled: 1-line block ×6, first 2 shown]
	s_and_saveexec_b32 s1, s0
	s_cbranch_execz .LBB0_19
; %bb.18:
	v_mul_f64 v[36:37], v[12:13], v[34:35]
	v_mul_f64 v[38:39], v[20:21], v[54:55]
	;; [unrolled: 1-line block ×12, first 2 shown]
	v_fma_f64 v[14:15], v[14:15], v[32:33], -v[36:37]
	v_fma_f64 v[22:23], v[22:23], v[52:53], -v[38:39]
	;; [unrolled: 1-line block ×4, first 2 shown]
	v_fma_f64 v[12:13], v[12:13], v[32:33], v[34:35]
	v_fma_f64 v[20:21], v[20:21], v[52:53], v[54:55]
	;; [unrolled: 1-line block ×6, first 2 shown]
	v_fma_f64 v[10:11], v[10:11], v[48:49], -v[50:51]
	v_fma_f64 v[18:19], v[18:19], v[44:45], -v[46:47]
	v_add_f64 v[28:29], v[14:15], v[22:23]
	v_add_f64 v[14:15], v[14:15], -v[22:23]
	v_add_f64 v[30:31], v[6:7], v[26:27]
	v_add_f64 v[6:7], v[6:7], -v[26:27]
	;; [unrolled: 2-line block ×4, first 2 shown]
	v_add_f64 v[36:37], v[16:17], -v[8:9]
	v_add_f64 v[8:9], v[8:9], v[16:17]
	v_add_f64 v[20:21], v[10:11], v[18:19]
	v_add_f64 v[10:11], v[18:19], -v[10:11]
	v_add_f64 v[16:17], v[28:29], v[30:31]
	v_add_f64 v[42:43], v[14:15], -v[6:7]
	;; [unrolled: 2-line block ×3, first 2 shown]
	v_add_f64 v[22:23], v[36:37], -v[12:13]
	v_add_f64 v[26:27], v[34:35], -v[8:9]
	v_add_f64 v[24:25], v[30:31], -v[20:21]
	v_add_f64 v[40:41], v[10:11], -v[14:15]
	v_add_f64 v[12:13], v[36:37], v[12:13]
	v_add_f64 v[36:37], v[4:5], -v[36:37]
	v_add_f64 v[14:15], v[10:11], v[14:15]
	v_add_f64 v[10:11], v[6:7], -v[10:11]
	;; [unrolled: 2-line block ×3, first 2 shown]
	v_add_f64 v[28:29], v[28:29], -v[30:31]
	v_mul_f64 v[46:47], v[42:43], s[2:3]
	v_add_f64 v[18:19], v[8:9], v[18:19]
	v_add_f64 v[8:9], v[8:9], -v[32:33]
	v_mul_f64 v[22:23], v[22:23], s[10:11]
	v_mul_f64 v[26:27], v[26:27], s[6:7]
	;; [unrolled: 1-line block ×5, first 2 shown]
	v_add_f64 v[32:33], v[32:33], -v[34:35]
	v_add_f64 v[4:5], v[12:13], v[4:5]
	v_add_f64 v[6:7], v[14:15], v[6:7]
	;; [unrolled: 1-line block ×3, first 2 shown]
	v_mul_f64 v[30:31], v[20:21], s[16:17]
	v_add_f64 v[0:1], v[0:1], v[18:19]
	v_mul_f64 v[34:35], v[8:9], s[16:17]
	v_fma_f64 v[12:13], v[36:37], s[20:21], v[22:23]
	v_fma_f64 v[8:9], v[8:9], s[16:17], v[26:27]
	;; [unrolled: 1-line block ×3, first 2 shown]
	v_fma_f64 v[20:21], v[36:37], s[22:23], -v[44:45]
	v_fma_f64 v[22:23], v[38:39], s[2:3], -v[22:23]
	;; [unrolled: 1-line block ×5, first 2 shown]
	v_fma_f64 v[16:17], v[16:17], s[12:13], v[2:3]
	v_fma_f64 v[28:29], v[28:29], s[14:15], -v[30:31]
	v_fma_f64 v[30:31], v[10:11], s[20:21], v[40:41]
	v_fma_f64 v[10:11], v[10:11], s[22:23], -v[46:47]
	;; [unrolled: 2-line block ×3, first 2 shown]
	v_fma_f64 v[12:13], v[4:5], s[24:25], v[12:13]
	v_fma_f64 v[20:21], v[4:5], s[24:25], v[20:21]
	;; [unrolled: 1-line block ×4, first 2 shown]
	v_add_f64 v[34:35], v[14:15], v[16:17]
	v_add_f64 v[22:23], v[24:25], v[16:17]
	v_add_f64 v[16:17], v[28:29], v[16:17]
	v_fma_f64 v[28:29], v[6:7], s[24:25], v[30:31]
	v_add_f64 v[38:39], v[8:9], v[18:19]
	v_fma_f64 v[30:31], v[6:7], s[24:25], v[10:11]
	v_add_f64 v[8:9], v[26:27], v[18:19]
	v_add_f64 v[32:33], v[32:33], v[18:19]
	v_add_f64 v[26:27], v[34:35], -v[12:13]
	v_add_f64 v[10:11], v[20:21], v[22:23]
	v_add_f64 v[22:23], v[22:23], -v[20:21]
	v_add_f64 v[14:15], v[16:17], -v[4:5]
	v_add_f64 v[24:25], v[28:29], v[38:39]
	v_add_f64 v[18:19], v[4:5], v[16:17]
	;; [unrolled: 1-line block ×3, first 2 shown]
	v_add_f64 v[16:17], v[32:33], -v[36:37]
	v_add_f64 v[6:7], v[12:13], v[34:35]
	v_add_f64 v[12:13], v[36:37], v[32:33]
	v_add_f64 v[8:9], v[8:9], -v[30:31]
	v_add_f64 v[4:5], v[38:39], -v[28:29]
	v_lshrrev_b32_e32 v28, 3, v86
	s_delay_alu instid0(VALU_DEP_1) | instskip(NEXT) | instid1(VALU_DEP_1)
	v_mul_lo_u32 v28, v28, 56
	v_or_b32_e32 v28, v28, v81
	s_delay_alu instid0(VALU_DEP_1)
	v_lshl_add_u32 v28, v28, 4, 0
	ds_store_b128 v28, v[0:3]
	ds_store_b128 v28, v[24:27] offset:128
	ds_store_b128 v28, v[20:23] offset:256
	;; [unrolled: 1-line block ×6, first 2 shown]
.LBB0_19:
	s_or_b32 exec_lo, exec_lo, s1
	v_dual_mov_b32 v1, 0 :: v_dual_lshlrev_b32 v0, 2, v80
	s_waitcnt lgkmcnt(0)
	s_barrier
	buffer_gl0_inv
	s_mov_b32 s3, 0x3fee6f0e
	v_lshlrev_b64 v[2:3], 4, v[0:1]
	v_mov_b32_e32 v81, v1
	v_mov_b32_e32 v87, v1
	s_delay_alu instid0(VALU_DEP_3) | instskip(NEXT) | instid1(VALU_DEP_1)
	v_add_co_u32 v14, s0, s4, v2
	v_add_co_ci_u32_e64 v15, s0, s5, v3, s0
	s_mov_b32 s0, 0x134454ff
	s_mov_b32 s1, 0xbfee6f0e
	s_clause 0x3
	global_load_b128 v[2:5], v[14:15], off offset:768
	global_load_b128 v[6:9], v[14:15], off offset:784
	;; [unrolled: 1-line block ×4, first 2 shown]
	ds_load_b128 v[18:21], v88 offset:1792
	ds_load_b128 v[22:25], v88 offset:3584
	;; [unrolled: 1-line block ×8, first 2 shown]
	s_mov_b32 s2, s0
	s_waitcnt vmcnt(3) lgkmcnt(7)
	v_mul_f64 v[50:51], v[20:21], v[4:5]
	s_waitcnt vmcnt(2) lgkmcnt(6)
	v_mul_f64 v[52:53], v[24:25], v[8:9]
	;; [unrolled: 2-line block ×4, first 2 shown]
	v_mul_f64 v[60:61], v[22:23], v[8:9]
	v_mul_f64 v[62:63], v[26:27], v[12:13]
	;; [unrolled: 1-line block ×4, first 2 shown]
	s_waitcnt lgkmcnt(3)
	v_mul_f64 v[66:67], v[36:37], v[4:5]
	s_waitcnt lgkmcnt(2)
	v_mul_f64 v[68:69], v[40:41], v[8:9]
	;; [unrolled: 2-line block ×3, first 2 shown]
	v_mul_f64 v[8:9], v[38:39], v[8:9]
	s_waitcnt lgkmcnt(0)
	v_mul_f64 v[72:73], v[48:49], v[16:17]
	v_mul_f64 v[12:13], v[42:43], v[12:13]
	;; [unrolled: 1-line block ×4, first 2 shown]
	v_fma_f64 v[18:19], v[18:19], v[2:3], v[50:51]
	v_fma_f64 v[22:23], v[22:23], v[6:7], v[52:53]
	;; [unrolled: 1-line block ×4, first 2 shown]
	v_fma_f64 v[24:25], v[24:25], v[6:7], -v[60:61]
	v_fma_f64 v[28:29], v[28:29], v[10:11], -v[62:63]
	;; [unrolled: 1-line block ×4, first 2 shown]
	v_fma_f64 v[34:35], v[34:35], v[2:3], v[66:67]
	v_fma_f64 v[38:39], v[38:39], v[6:7], v[68:69]
	v_fma_f64 v[42:43], v[42:43], v[10:11], v[70:71]
	v_fma_f64 v[40:41], v[40:41], v[6:7], -v[8:9]
	v_fma_f64 v[46:47], v[46:47], v[14:15], v[72:73]
	v_fma_f64 v[10:11], v[44:45], v[10:11], -v[12:13]
	v_fma_f64 v[12:13], v[36:37], v[2:3], -v[4:5]
	v_fma_f64 v[14:15], v[48:49], v[14:15], -v[16:17]
	ds_load_b128 v[2:5], v88
	ds_load_b128 v[6:9], v83
	s_waitcnt lgkmcnt(0)
	s_barrier
	buffer_gl0_inv
	v_add_f64 v[58:59], v[2:3], v[18:19]
	v_add_f64 v[16:17], v[22:23], v[26:27]
	v_add_f64 v[36:37], v[18:19], v[30:31]
	v_add_f64 v[70:71], v[18:19], -v[30:31]
	v_add_f64 v[44:45], v[24:25], v[28:29]
	v_add_f64 v[64:65], v[4:5], v[20:21]
	;; [unrolled: 1-line block ×3, first 2 shown]
	v_add_f64 v[60:61], v[20:21], -v[32:33]
	v_add_f64 v[62:63], v[24:25], -v[28:29]
	v_add_f64 v[50:51], v[38:39], v[42:43]
	v_add_f64 v[66:67], v[6:7], v[34:35]
	;; [unrolled: 1-line block ×6, first 2 shown]
	v_add_f64 v[72:73], v[12:13], -v[14:15]
	v_add_f64 v[74:75], v[34:35], -v[46:47]
	v_add_f64 v[78:79], v[26:27], -v[30:31]
	v_add_f64 v[89:90], v[20:21], -v[24:25]
	v_add_f64 v[20:21], v[24:25], -v[20:21]
	v_add_f64 v[93:94], v[28:29], -v[32:33]
	v_add_f64 v[101:102], v[12:13], -v[40:41]
	v_add_f64 v[12:13], v[40:41], -v[12:13]
	v_add_f64 v[105:106], v[10:11], -v[14:15]
	v_add_f64 v[76:77], v[30:31], -v[26:27]
	v_add_f64 v[91:92], v[32:33], -v[28:29]
	v_add_f64 v[95:96], v[34:35], -v[38:39]
	v_add_f64 v[34:35], v[38:39], -v[34:35]
	v_add_f64 v[97:98], v[46:47], -v[42:43]
	v_add_f64 v[99:100], v[42:43], -v[46:47]
	v_add_f64 v[103:104], v[14:15], -v[10:11]
	v_fma_f64 v[16:17], v[16:17], -0.5, v[2:3]
	v_fma_f64 v[2:3], v[36:37], -0.5, v[2:3]
	v_add_f64 v[36:37], v[22:23], -v[26:27]
	v_fma_f64 v[44:45], v[44:45], -0.5, v[4:5]
	v_add_f64 v[24:25], v[64:65], v[24:25]
	v_fma_f64 v[4:5], v[48:49], -0.5, v[4:5]
	v_add_f64 v[48:49], v[40:41], -v[10:11]
	v_fma_f64 v[50:51], v[50:51], -0.5, v[6:7]
	v_fma_f64 v[6:7], v[52:53], -0.5, v[6:7]
	;; [unrolled: 1-line block ×3, first 2 shown]
	v_add_f64 v[52:53], v[38:39], -v[42:43]
	v_fma_f64 v[8:9], v[56:57], -0.5, v[8:9]
	v_add_f64 v[56:57], v[18:19], -v[22:23]
	v_add_f64 v[18:19], v[22:23], -v[18:19]
	v_add_f64 v[22:23], v[58:59], v[22:23]
	v_add_f64 v[38:39], v[66:67], v[38:39]
	v_add_f64 v[40:41], v[68:69], v[40:41]
	v_add_f64 v[34:35], v[34:35], v[99:100]
	v_fma_f64 v[58:59], v[60:61], s[0:1], v[16:17]
	v_fma_f64 v[16:17], v[60:61], s[2:3], v[16:17]
	;; [unrolled: 1-line block ×16, first 2 shown]
	s_mov_b32 s0, 0x4755a5e
	s_mov_b32 s1, 0xbfe2cf23
	;; [unrolled: 1-line block ×4, first 2 shown]
	v_add_f64 v[18:19], v[18:19], v[78:79]
	v_add_f64 v[78:79], v[20:21], v[93:94]
	;; [unrolled: 1-line block ×11, first 2 shown]
	v_fma_f64 v[26:27], v[62:63], s[0:1], v[58:59]
	v_fma_f64 v[28:29], v[62:63], s[2:3], v[16:17]
	;; [unrolled: 1-line block ×16, first 2 shown]
	s_mov_b32 s0, 0x372fe950
	s_mov_b32 s1, 0x3fd3c6ef
	s_mov_b32 s3, exec_lo
	v_add_f64 v[8:9], v[12:13], v[30:31]
	v_add_f64 v[10:11], v[20:21], v[32:33]
	;; [unrolled: 1-line block ×4, first 2 shown]
	v_fma_f64 v[16:17], v[56:57], s[0:1], v[26:27]
	v_fma_f64 v[20:21], v[56:57], s[0:1], v[28:29]
	;; [unrolled: 1-line block ×16, first 2 shown]
	v_lshlrev_b64 v[4:5], 4, v[80:81]
	v_lshlrev_b64 v[6:7], 4, v[86:87]
	s_add_u32 s1, s4, 0x2280
	s_addc_u32 s2, s5, 0
	ds_store_b128 v88, v[8:11]
	ds_store_b128 v88, v[16:19] offset:896
	ds_store_b128 v88, v[24:27] offset:1792
	;; [unrolled: 1-line block ×9, first 2 shown]
	v_add_co_u32 v0, s0, s4, v4
	s_delay_alu instid0(VALU_DEP_1) | instskip(SKIP_1) | instid1(VALU_DEP_1)
	v_add_co_ci_u32_e64 v1, s0, s5, v5, s0
	v_add_co_u32 v2, s0, s4, v6
	v_add_co_ci_u32_e64 v3, s0, s5, v7, s0
	s_delay_alu instid0(VALU_DEP_4) | instskip(NEXT) | instid1(VALU_DEP_1)
	v_add_co_u32 v48, s0, 0x1000, v0
	v_add_co_ci_u32_e64 v49, s0, 0, v1, s0
	s_delay_alu instid0(VALU_DEP_4) | instskip(NEXT) | instid1(VALU_DEP_1)
	v_add_co_u32 v50, s0, 0x1000, v2
	v_add_co_ci_u32_e64 v51, s0, 0, v3, s0
	s_waitcnt lgkmcnt(0)
	s_barrier
	buffer_gl0_inv
	s_clause 0x4
	global_load_b128 v[0:3], v[48:49], off offset:256
	global_load_b128 v[8:11], v[50:51], off offset:256
	;; [unrolled: 1-line block ×5, first 2 shown]
	ds_load_b128 v[24:27], v88 offset:4480
	ds_load_b128 v[28:31], v88 offset:5376
	;; [unrolled: 1-line block ×6, first 2 shown]
	s_waitcnt vmcnt(4) lgkmcnt(5)
	v_mul_f64 v[48:49], v[26:27], v[2:3]
	v_mul_f64 v[2:3], v[24:25], v[2:3]
	s_waitcnt vmcnt(3) lgkmcnt(4)
	v_mul_f64 v[50:51], v[30:31], v[10:11]
	v_mul_f64 v[10:11], v[28:29], v[10:11]
	;; [unrolled: 3-line block ×5, first 2 shown]
	v_fma_f64 v[24:25], v[24:25], v[0:1], v[48:49]
	v_fma_f64 v[26:27], v[26:27], v[0:1], -v[2:3]
	v_fma_f64 v[28:29], v[28:29], v[8:9], v[50:51]
	v_fma_f64 v[30:31], v[30:31], v[8:9], -v[10:11]
	;; [unrolled: 2-line block ×5, first 2 shown]
	ds_load_b128 v[0:3], v88
	ds_load_b128 v[8:11], v83
	ds_load_b128 v[12:15], v88 offset:1792
	ds_load_b128 v[16:19], v88 offset:2688
	s_waitcnt lgkmcnt(0)
	s_barrier
	buffer_gl0_inv
	v_add_f64 v[20:21], v[0:1], -v[24:25]
	v_add_f64 v[22:23], v[2:3], -v[26:27]
	;; [unrolled: 1-line block ×10, first 2 shown]
	v_fma_f64 v[0:1], v[0:1], 2.0, -v[20:21]
	v_fma_f64 v[2:3], v[2:3], 2.0, -v[22:23]
	;; [unrolled: 1-line block ×10, first 2 shown]
	ds_store_b128 v88, v[0:3]
	ds_store_b128 v88, v[20:23] offset:4480
	ds_store_b128 v83, v[8:11]
	ds_store_b128 v83, v[24:27] offset:4480
	ds_store_b128 v88, v[12:15] offset:1792
	;; [unrolled: 1-line block ×7, first 2 shown]
	s_waitcnt lgkmcnt(0)
	s_barrier
	buffer_gl0_inv
	ds_load_b128 v[0:3], v88
	v_lshlrev_b32_e32 v8, 4, v80
                                        ; implicit-def: $vgpr10_vgpr11
	s_delay_alu instid0(VALU_DEP_1)
	v_sub_nc_u32_e32 v12, 0, v8
                                        ; implicit-def: $vgpr8_vgpr9
	v_cmpx_ne_u32_e32 0, v80
	s_xor_b32 s3, exec_lo, s3
	s_cbranch_execz .LBB0_21
; %bb.20:
	v_add_co_u32 v8, s0, s1, v4
	s_delay_alu instid0(VALU_DEP_1)
	v_add_co_ci_u32_e64 v9, s0, s2, v5, s0
	global_load_b128 v[13:16], v[8:9], off
	ds_load_b128 v[8:11], v12 offset:8960
	s_waitcnt lgkmcnt(0)
	v_add_f64 v[17:18], v[0:1], -v[8:9]
	v_add_f64 v[19:20], v[2:3], v[10:11]
	v_add_f64 v[2:3], v[2:3], -v[10:11]
	v_add_f64 v[0:1], v[0:1], v[8:9]
	s_delay_alu instid0(VALU_DEP_4) | instskip(NEXT) | instid1(VALU_DEP_4)
	v_mul_f64 v[10:11], v[17:18], 0.5
	v_mul_f64 v[17:18], v[19:20], 0.5
	s_delay_alu instid0(VALU_DEP_4) | instskip(SKIP_1) | instid1(VALU_DEP_3)
	v_mul_f64 v[2:3], v[2:3], 0.5
	s_waitcnt vmcnt(0)
	v_mul_f64 v[8:9], v[10:11], v[15:16]
	s_delay_alu instid0(VALU_DEP_2) | instskip(SKIP_1) | instid1(VALU_DEP_3)
	v_fma_f64 v[19:20], v[17:18], v[15:16], v[2:3]
	v_fma_f64 v[2:3], v[17:18], v[15:16], -v[2:3]
	v_fma_f64 v[15:16], v[0:1], 0.5, v[8:9]
	v_fma_f64 v[0:1], v[0:1], 0.5, -v[8:9]
	s_delay_alu instid0(VALU_DEP_4) | instskip(NEXT) | instid1(VALU_DEP_4)
	v_fma_f64 v[19:20], -v[13:14], v[10:11], v[19:20]
	v_fma_f64 v[2:3], -v[13:14], v[10:11], v[2:3]
	ds_store_b64 v88, v[19:20] offset:8
	ds_store_b64 v12, v[2:3] offset:8968
	v_fma_f64 v[8:9], v[17:18], v[13:14], v[15:16]
	v_fma_f64 v[10:11], -v[17:18], v[13:14], v[0:1]
                                        ; implicit-def: $vgpr0_vgpr1
.LBB0_21:
	s_and_not1_saveexec_b32 s0, s3
	s_cbranch_execz .LBB0_23
; %bb.22:
	s_waitcnt lgkmcnt(0)
	v_add_f64 v[8:9], v[0:1], v[2:3]
	v_add_f64 v[10:11], v[0:1], -v[2:3]
	s_mov_b32 s4, 0
	v_mov_b32_e32 v2, 0
	s_mov_b32 s5, s4
	s_delay_alu instid0(SALU_CYCLE_1)
	v_dual_mov_b32 v0, s4 :: v_dual_mov_b32 v1, s5
	ds_store_b64 v88, v[0:1] offset:8
	ds_store_b64 v12, v[0:1] offset:8968
	ds_load_b64 v[0:1], v2 offset:4488
	s_waitcnt lgkmcnt(0)
	v_xor_b32_e32 v1, 0x80000000, v1
	ds_store_b64 v2, v[0:1] offset:4488
.LBB0_23:
	s_or_b32 exec_lo, exec_lo, s0
	s_waitcnt lgkmcnt(0)
	v_add_co_u32 v0, s0, s1, v6
	s_delay_alu instid0(VALU_DEP_1) | instskip(SKIP_1) | instid1(VALU_DEP_1)
	v_add_co_ci_u32_e64 v1, s0, s2, v7, s0
	v_add_co_u32 v21, s0, s1, v4
	v_add_co_ci_u32_e64 v22, s0, s2, v5, s0
	s_clause 0x1
	global_load_b128 v[0:3], v[0:1], off
	global_load_b128 v[13:16], v[21:22], off offset:1792
	ds_store_b64 v88, v[8:9]
	ds_store_b64 v12, v[10:11] offset:8960
	ds_load_b128 v[6:9], v83
	ds_load_b128 v[17:20], v12 offset:8064
	s_waitcnt lgkmcnt(0)
	v_add_f64 v[10:11], v[6:7], -v[17:18]
	v_add_f64 v[23:24], v[8:9], v[19:20]
	v_add_f64 v[8:9], v[8:9], -v[19:20]
	v_add_f64 v[6:7], v[6:7], v[17:18]
	s_delay_alu instid0(VALU_DEP_4) | instskip(NEXT) | instid1(VALU_DEP_4)
	v_mul_f64 v[10:11], v[10:11], 0.5
	v_mul_f64 v[19:20], v[23:24], 0.5
	s_delay_alu instid0(VALU_DEP_4) | instskip(SKIP_1) | instid1(VALU_DEP_3)
	v_mul_f64 v[8:9], v[8:9], 0.5
	s_waitcnt vmcnt(1)
	v_mul_f64 v[17:18], v[10:11], v[2:3]
	s_delay_alu instid0(VALU_DEP_2) | instskip(SKIP_1) | instid1(VALU_DEP_3)
	v_fma_f64 v[23:24], v[19:20], v[2:3], v[8:9]
	v_fma_f64 v[2:3], v[19:20], v[2:3], -v[8:9]
	v_fma_f64 v[8:9], v[6:7], 0.5, v[17:18]
	v_fma_f64 v[6:7], v[6:7], 0.5, -v[17:18]
	s_delay_alu instid0(VALU_DEP_4) | instskip(NEXT) | instid1(VALU_DEP_4)
	v_fma_f64 v[17:18], -v[0:1], v[10:11], v[23:24]
	v_fma_f64 v[2:3], -v[0:1], v[10:11], v[2:3]
	s_delay_alu instid0(VALU_DEP_4) | instskip(NEXT) | instid1(VALU_DEP_4)
	v_fma_f64 v[10:11], v[19:20], v[0:1], v[8:9]
	v_fma_f64 v[0:1], -v[19:20], v[0:1], v[6:7]
	global_load_b128 v[6:9], v[21:22], off offset:2688
	ds_store_2addr_b64 v83, v[10:11], v[17:18] offset1:1
	ds_store_b128 v12, v[0:3] offset:8064
	ds_load_b128 v[0:3], v88 offset:1792
	ds_load_b128 v[17:20], v12 offset:7168
	s_waitcnt lgkmcnt(0)
	v_add_f64 v[10:11], v[0:1], -v[17:18]
	v_add_f64 v[23:24], v[2:3], v[19:20]
	v_add_f64 v[2:3], v[2:3], -v[19:20]
	v_add_f64 v[0:1], v[0:1], v[17:18]
	s_delay_alu instid0(VALU_DEP_4) | instskip(NEXT) | instid1(VALU_DEP_4)
	v_mul_f64 v[10:11], v[10:11], 0.5
	v_mul_f64 v[19:20], v[23:24], 0.5
	s_delay_alu instid0(VALU_DEP_4) | instskip(SKIP_1) | instid1(VALU_DEP_3)
	v_mul_f64 v[2:3], v[2:3], 0.5
	s_waitcnt vmcnt(1)
	v_mul_f64 v[17:18], v[10:11], v[15:16]
	s_delay_alu instid0(VALU_DEP_2) | instskip(SKIP_1) | instid1(VALU_DEP_3)
	v_fma_f64 v[23:24], v[19:20], v[15:16], v[2:3]
	v_fma_f64 v[2:3], v[19:20], v[15:16], -v[2:3]
	v_fma_f64 v[15:16], v[0:1], 0.5, v[17:18]
	v_fma_f64 v[0:1], v[0:1], 0.5, -v[17:18]
	s_delay_alu instid0(VALU_DEP_4) | instskip(NEXT) | instid1(VALU_DEP_4)
	v_fma_f64 v[17:18], -v[13:14], v[10:11], v[23:24]
	v_fma_f64 v[2:3], -v[13:14], v[10:11], v[2:3]
	s_delay_alu instid0(VALU_DEP_4) | instskip(NEXT) | instid1(VALU_DEP_4)
	v_fma_f64 v[10:11], v[19:20], v[13:14], v[15:16]
	v_fma_f64 v[0:1], -v[19:20], v[13:14], v[0:1]
	global_load_b128 v[13:16], v[21:22], off offset:3584
	ds_store_2addr_b64 v88, v[10:11], v[17:18] offset0:224 offset1:225
	ds_store_b128 v12, v[0:3] offset:7168
	ds_load_b128 v[0:3], v88 offset:2688
	ds_load_b128 v[17:20], v12 offset:6272
	s_waitcnt lgkmcnt(0)
	v_add_f64 v[10:11], v[0:1], -v[17:18]
	v_add_f64 v[21:22], v[2:3], v[19:20]
	v_add_f64 v[2:3], v[2:3], -v[19:20]
	v_add_f64 v[0:1], v[0:1], v[17:18]
	s_delay_alu instid0(VALU_DEP_4) | instskip(NEXT) | instid1(VALU_DEP_4)
	v_mul_f64 v[10:11], v[10:11], 0.5
	v_mul_f64 v[19:20], v[21:22], 0.5
	s_delay_alu instid0(VALU_DEP_4) | instskip(SKIP_1) | instid1(VALU_DEP_3)
	v_mul_f64 v[2:3], v[2:3], 0.5
	s_waitcnt vmcnt(1)
	v_mul_f64 v[17:18], v[10:11], v[8:9]
	s_delay_alu instid0(VALU_DEP_2) | instskip(SKIP_1) | instid1(VALU_DEP_3)
	v_fma_f64 v[21:22], v[19:20], v[8:9], v[2:3]
	v_fma_f64 v[2:3], v[19:20], v[8:9], -v[2:3]
	v_fma_f64 v[8:9], v[0:1], 0.5, v[17:18]
	v_fma_f64 v[0:1], v[0:1], 0.5, -v[17:18]
	s_delay_alu instid0(VALU_DEP_4) | instskip(NEXT) | instid1(VALU_DEP_4)
	v_fma_f64 v[17:18], -v[6:7], v[10:11], v[21:22]
	v_fma_f64 v[2:3], -v[6:7], v[10:11], v[2:3]
	s_delay_alu instid0(VALU_DEP_4) | instskip(NEXT) | instid1(VALU_DEP_4)
	v_fma_f64 v[8:9], v[19:20], v[6:7], v[8:9]
	v_fma_f64 v[0:1], -v[19:20], v[6:7], v[0:1]
	v_add_nc_u32_e32 v19, 0x800, v88
	ds_store_2addr_b64 v19, v[8:9], v[17:18] offset0:80 offset1:81
	ds_store_b128 v12, v[0:3] offset:6272
	ds_load_b128 v[0:3], v88 offset:3584
	ds_load_b128 v[6:9], v12 offset:5376
	s_waitcnt lgkmcnt(0)
	v_add_f64 v[10:11], v[0:1], -v[6:7]
	v_add_f64 v[17:18], v[2:3], v[8:9]
	v_add_f64 v[2:3], v[2:3], -v[8:9]
	v_add_f64 v[0:1], v[0:1], v[6:7]
	s_delay_alu instid0(VALU_DEP_4) | instskip(NEXT) | instid1(VALU_DEP_4)
	v_mul_f64 v[8:9], v[10:11], 0.5
	v_mul_f64 v[10:11], v[17:18], 0.5
	s_delay_alu instid0(VALU_DEP_4) | instskip(SKIP_1) | instid1(VALU_DEP_3)
	v_mul_f64 v[2:3], v[2:3], 0.5
	s_waitcnt vmcnt(0)
	v_mul_f64 v[6:7], v[8:9], v[15:16]
	s_delay_alu instid0(VALU_DEP_2) | instskip(SKIP_1) | instid1(VALU_DEP_3)
	v_fma_f64 v[17:18], v[10:11], v[15:16], v[2:3]
	v_fma_f64 v[2:3], v[10:11], v[15:16], -v[2:3]
	v_fma_f64 v[15:16], v[0:1], 0.5, v[6:7]
	v_fma_f64 v[0:1], v[0:1], 0.5, -v[6:7]
	s_delay_alu instid0(VALU_DEP_4) | instskip(NEXT) | instid1(VALU_DEP_4)
	v_fma_f64 v[6:7], -v[13:14], v[8:9], v[17:18]
	v_fma_f64 v[2:3], -v[13:14], v[8:9], v[2:3]
	s_delay_alu instid0(VALU_DEP_4) | instskip(NEXT) | instid1(VALU_DEP_4)
	v_fma_f64 v[8:9], v[10:11], v[13:14], v[15:16]
	v_fma_f64 v[0:1], -v[10:11], v[13:14], v[0:1]
	ds_store_2addr_b64 v19, v[8:9], v[6:7] offset0:192 offset1:193
	ds_store_b128 v12, v[0:3] offset:5376
	s_waitcnt lgkmcnt(0)
	s_barrier
	buffer_gl0_inv
	s_and_saveexec_b32 s0, vcc_lo
	s_cbranch_execz .LBB0_26
; %bb.24:
	ds_load_b128 v[6:9], v88
	ds_load_b128 v[10:13], v88 offset:896
	ds_load_b128 v[14:17], v88 offset:1792
	;; [unrolled: 1-line block ×3, first 2 shown]
	v_add_co_u32 v0, vcc_lo, s8, v84
	v_add_co_ci_u32_e32 v1, vcc_lo, s9, v85, vcc_lo
	ds_load_b128 v[22:25], v88 offset:3584
	ds_load_b128 v[26:29], v88 offset:4480
	v_add_co_u32 v42, vcc_lo, v0, v4
	v_add_co_ci_u32_e32 v43, vcc_lo, v1, v5, vcc_lo
	ds_load_b128 v[2:5], v88 offset:5376
	ds_load_b128 v[30:33], v88 offset:6272
	;; [unrolled: 1-line block ×4, first 2 shown]
	v_mov_b32_e32 v83, 0
	s_waitcnt lgkmcnt(9)
	global_store_b128 v[42:43], v[6:9], off
	s_waitcnt lgkmcnt(8)
	global_store_b128 v[42:43], v[10:13], off offset:896
	s_waitcnt lgkmcnt(7)
	global_store_b128 v[42:43], v[14:17], off offset:1792
	;; [unrolled: 2-line block ×3, first 2 shown]
	v_lshlrev_b64 v[6:7], 4, v[82:83]
	v_add_co_u32 v8, vcc_lo, 0x1000, v42
	v_add_co_ci_u32_e32 v9, vcc_lo, 0, v43, vcc_lo
	s_waitcnt lgkmcnt(5)
	global_store_b128 v[42:43], v[22:25], off offset:3584
	s_waitcnt lgkmcnt(4)
	global_store_b128 v[8:9], v[26:29], off offset:384
	v_add_co_u32 v6, vcc_lo, v0, v6
	v_add_co_ci_u32_e32 v7, vcc_lo, v1, v7, vcc_lo
	v_cmp_eq_u32_e32 vcc_lo, 55, v80
	s_waitcnt lgkmcnt(3)
	global_store_b128 v[8:9], v[2:5], off offset:1280
	s_waitcnt lgkmcnt(2)
	global_store_b128 v[8:9], v[30:33], off offset:2176
	s_waitcnt lgkmcnt(1)
	global_store_b128 v[6:7], v[34:37], off
	s_waitcnt lgkmcnt(0)
	global_store_b128 v[8:9], v[38:41], off offset:3968
	s_and_b32 exec_lo, exec_lo, vcc_lo
	s_cbranch_execz .LBB0_26
; %bb.25:
	ds_load_b128 v[2:5], v83 offset:8960
	v_add_co_u32 v0, vcc_lo, 0x2000, v0
	v_add_co_ci_u32_e32 v1, vcc_lo, 0, v1, vcc_lo
	s_waitcnt lgkmcnt(0)
	global_store_b128 v[0:1], v[2:5], off offset:768
.LBB0_26:
	s_nop 0
	s_sendmsg sendmsg(MSG_DEALLOC_VGPRS)
	s_endpgm
	.section	.rodata,"a",@progbits
	.p2align	6, 0x0
	.amdhsa_kernel fft_rtc_back_len560_factors_8_7_5_2_wgs_56_tpt_56_dp_ip_CI_unitstride_sbrr_R2C_dirReg
		.amdhsa_group_segment_fixed_size 0
		.amdhsa_private_segment_fixed_size 0
		.amdhsa_kernarg_size 88
		.amdhsa_user_sgpr_count 15
		.amdhsa_user_sgpr_dispatch_ptr 0
		.amdhsa_user_sgpr_queue_ptr 0
		.amdhsa_user_sgpr_kernarg_segment_ptr 1
		.amdhsa_user_sgpr_dispatch_id 0
		.amdhsa_user_sgpr_private_segment_size 0
		.amdhsa_wavefront_size32 1
		.amdhsa_uses_dynamic_stack 0
		.amdhsa_enable_private_segment 0
		.amdhsa_system_sgpr_workgroup_id_x 1
		.amdhsa_system_sgpr_workgroup_id_y 0
		.amdhsa_system_sgpr_workgroup_id_z 0
		.amdhsa_system_sgpr_workgroup_info 0
		.amdhsa_system_vgpr_workitem_id 0
		.amdhsa_next_free_vgpr 115
		.amdhsa_next_free_sgpr 26
		.amdhsa_reserve_vcc 1
		.amdhsa_float_round_mode_32 0
		.amdhsa_float_round_mode_16_64 0
		.amdhsa_float_denorm_mode_32 3
		.amdhsa_float_denorm_mode_16_64 3
		.amdhsa_dx10_clamp 1
		.amdhsa_ieee_mode 1
		.amdhsa_fp16_overflow 0
		.amdhsa_workgroup_processor_mode 1
		.amdhsa_memory_ordered 1
		.amdhsa_forward_progress 0
		.amdhsa_shared_vgpr_count 0
		.amdhsa_exception_fp_ieee_invalid_op 0
		.amdhsa_exception_fp_denorm_src 0
		.amdhsa_exception_fp_ieee_div_zero 0
		.amdhsa_exception_fp_ieee_overflow 0
		.amdhsa_exception_fp_ieee_underflow 0
		.amdhsa_exception_fp_ieee_inexact 0
		.amdhsa_exception_int_div_zero 0
	.end_amdhsa_kernel
	.text
.Lfunc_end0:
	.size	fft_rtc_back_len560_factors_8_7_5_2_wgs_56_tpt_56_dp_ip_CI_unitstride_sbrr_R2C_dirReg, .Lfunc_end0-fft_rtc_back_len560_factors_8_7_5_2_wgs_56_tpt_56_dp_ip_CI_unitstride_sbrr_R2C_dirReg
                                        ; -- End function
	.section	.AMDGPU.csdata,"",@progbits
; Kernel info:
; codeLenInByte = 8896
; NumSgprs: 28
; NumVgprs: 115
; ScratchSize: 0
; MemoryBound: 0
; FloatMode: 240
; IeeeMode: 1
; LDSByteSize: 0 bytes/workgroup (compile time only)
; SGPRBlocks: 3
; VGPRBlocks: 14
; NumSGPRsForWavesPerEU: 28
; NumVGPRsForWavesPerEU: 115
; Occupancy: 12
; WaveLimiterHint : 1
; COMPUTE_PGM_RSRC2:SCRATCH_EN: 0
; COMPUTE_PGM_RSRC2:USER_SGPR: 15
; COMPUTE_PGM_RSRC2:TRAP_HANDLER: 0
; COMPUTE_PGM_RSRC2:TGID_X_EN: 1
; COMPUTE_PGM_RSRC2:TGID_Y_EN: 0
; COMPUTE_PGM_RSRC2:TGID_Z_EN: 0
; COMPUTE_PGM_RSRC2:TIDIG_COMP_CNT: 0
	.text
	.p2alignl 7, 3214868480
	.fill 96, 4, 3214868480
	.type	__hip_cuid_85e6a9a4871e74ad,@object ; @__hip_cuid_85e6a9a4871e74ad
	.section	.bss,"aw",@nobits
	.globl	__hip_cuid_85e6a9a4871e74ad
__hip_cuid_85e6a9a4871e74ad:
	.byte	0                               ; 0x0
	.size	__hip_cuid_85e6a9a4871e74ad, 1

	.ident	"AMD clang version 19.0.0git (https://github.com/RadeonOpenCompute/llvm-project roc-6.4.0 25133 c7fe45cf4b819c5991fe208aaa96edf142730f1d)"
	.section	".note.GNU-stack","",@progbits
	.addrsig
	.addrsig_sym __hip_cuid_85e6a9a4871e74ad
	.amdgpu_metadata
---
amdhsa.kernels:
  - .args:
      - .actual_access:  read_only
        .address_space:  global
        .offset:         0
        .size:           8
        .value_kind:     global_buffer
      - .offset:         8
        .size:           8
        .value_kind:     by_value
      - .actual_access:  read_only
        .address_space:  global
        .offset:         16
        .size:           8
        .value_kind:     global_buffer
      - .actual_access:  read_only
        .address_space:  global
        .offset:         24
        .size:           8
        .value_kind:     global_buffer
      - .offset:         32
        .size:           8
        .value_kind:     by_value
      - .actual_access:  read_only
        .address_space:  global
        .offset:         40
        .size:           8
        .value_kind:     global_buffer
      - .actual_access:  read_only
        .address_space:  global
        .offset:         48
        .size:           8
        .value_kind:     global_buffer
      - .offset:         56
        .size:           4
        .value_kind:     by_value
      - .actual_access:  read_only
        .address_space:  global
        .offset:         64
        .size:           8
        .value_kind:     global_buffer
      - .actual_access:  read_only
        .address_space:  global
        .offset:         72
        .size:           8
        .value_kind:     global_buffer
      - .address_space:  global
        .offset:         80
        .size:           8
        .value_kind:     global_buffer
    .group_segment_fixed_size: 0
    .kernarg_segment_align: 8
    .kernarg_segment_size: 88
    .language:       OpenCL C
    .language_version:
      - 2
      - 0
    .max_flat_workgroup_size: 56
    .name:           fft_rtc_back_len560_factors_8_7_5_2_wgs_56_tpt_56_dp_ip_CI_unitstride_sbrr_R2C_dirReg
    .private_segment_fixed_size: 0
    .sgpr_count:     28
    .sgpr_spill_count: 0
    .symbol:         fft_rtc_back_len560_factors_8_7_5_2_wgs_56_tpt_56_dp_ip_CI_unitstride_sbrr_R2C_dirReg.kd
    .uniform_work_group_size: 1
    .uses_dynamic_stack: false
    .vgpr_count:     115
    .vgpr_spill_count: 0
    .wavefront_size: 32
    .workgroup_processor_mode: 1
amdhsa.target:   amdgcn-amd-amdhsa--gfx1100
amdhsa.version:
  - 1
  - 2
...

	.end_amdgpu_metadata
